;; amdgpu-corpus repo=FlagOpen/FlagGems kind=triton arch=gfx950 opt=O3 lang=triton
	.amdgcn_target "amdgcn-amd-amdhsa--gfx950"
	.amdhsa_code_object_version 5
	.text
	.globl	_safe_softmax_kernel            ; -- Begin function _safe_softmax_kernel
	.p2align	8
	.type	_safe_softmax_kernel,@function
_safe_softmax_kernel:                   ; @_safe_softmax_kernel
.Lfunc_begin0:
	.cfi_sections .debug_frame
	.cfi_startproc
; %bb.13:
	.file	1 "/root/src/amdgpu-assembly/repos/FlagOpen__FlagGems/triton_aot_kernels" "_safe_softmax_aot.py"
	.loc	1 8 0 prologue_end              ; _safe_softmax_aot.py:8:0
	s_load_dwordx2 s[2:3], s[0:1], 0x0
	s_load_dwordx8 s[4:11], s[0:1], 0x8
	s_waitcnt lgkmcnt(0)
	s_branch .LBB0_0
	.loc	1 0 0 is_stmt 0                 ; :0:0
.Ltmp0:
	.p2align	8
; %bb.14:
.LBB0_0:
.Ltmp1:
	.file	2 "/root/.local/lib/python3.13/site-packages/triton/language" "standard.py"
	.loc	2 293 36 is_stmt 1              ; standard.py:293:36 @[ _safe_softmax_aot.py:24:21 ]
	v_readfirstlane_b32 s6, v0
.Ltmp2:
	.loc	1 12 24                         ; _safe_softmax_aot.py:12:24
	v_and_b32_e32 v5, 63, v0
	s_and_b32 s0, s6, 0xc0
	v_or_b32_e32 v1, s0, v5
	.loc	1 15 26                         ; _safe_softmax_aot.py:15:26
	s_mul_i32 s0, s7, s12
	.loc	1 16 28                         ; _safe_softmax_aot.py:16:28
	s_ashr_i32 s1, s0, 31
	s_lshl_b64 s[12:13], s[0:1], 2
	s_add_u32 s16, s2, s12
	s_addc_u32 s0, s3, s13
	.loc	1 12 24                         ; _safe_softmax_aot.py:12:24
	v_or_b32_e32 v2, 0x100, v1
	.loc	1 16 16                         ; _safe_softmax_aot.py:16:16
	s_and_b32 s17, s0, 0xffff
	v_lshlrev_b32_e32 v6, 2, v1
	v_bfrev_b32_e32 v7, 1
	.loc	1 13 18                         ; _safe_softmax_aot.py:13:18
	v_cmp_gt_i32_e64 s[0:1], s7, v1
	.loc	1 12 24                         ; _safe_softmax_aot.py:12:24
	v_or_b32_e32 v3, 0x200, v1
	v_or_b32_e32 v4, 0x300, v1
	.loc	1 16 16                         ; _safe_softmax_aot.py:16:16
	v_cndmask_b32_e64 v1, v7, v6, s[0:1]
	v_lshlrev_b32_e32 v6, 2, v2
	.loc	1 13 18                         ; _safe_softmax_aot.py:13:18
	v_cmp_gt_i32_e64 s[2:3], s7, v2
	v_cmp_gt_i32_e64 s[10:11], s7, v3
	s_mov_b32 s19, 0x27000
	.loc	1 16 16                         ; _safe_softmax_aot.py:16:16
	v_cndmask_b32_e64 v2, v7, v6, s[2:3]
	v_lshlrev_b32_e32 v6, 2, v3
	s_mov_b32 s18, 0x7ffffffe
	v_cndmask_b32_e64 v3, v7, v6, s[10:11]
	v_lshlrev_b32_e32 v6, 2, v4
	.loc	1 13 18                         ; _safe_softmax_aot.py:13:18
	v_cmp_gt_i32_e64 s[8:9], s7, v4
	.loc	1 16 16                         ; _safe_softmax_aot.py:16:16
	v_mov_b32_e32 v10, 0xff800000
.Ltmp3:
	.loc	2 191 40                        ; standard.py:191:40 @[ _safe_softmax_aot.py:19:19 ]
	v_cmp_eq_u32_e32 vcc, 0, v5
.Ltmp4:
	.loc	1 16 16                         ; _safe_softmax_aot.py:16:16
	v_cndmask_b32_e64 v4, v7, v6, s[8:9]
	buffer_load_dword v6, v1, s[16:19], 0 offen
	buffer_load_dword v7, v2, s[16:19], 0 offen
	;; [unrolled: 1-line block ×4, first 2 shown]
.Ltmp5:
	.loc	2 191 40                        ; standard.py:191:40 @[ _safe_softmax_aot.py:19:19 ]
	s_lshr_b32 s6, s6, 4
	s_and_b32 s6, s6, 12
.Ltmp6:
	.loc	1 16 16                         ; _safe_softmax_aot.py:16:16
	s_waitcnt vmcnt(3)
	v_cndmask_b32_e64 v6, v10, v6, s[0:1]
	s_waitcnt vmcnt(2)
	v_cndmask_b32_e64 v7, v10, v7, s[2:3]
	;; [unrolled: 2-line block ×4, first 2 shown]
.Ltmp7:
	.loc	2 170 27                        ; standard.py:170:27 @[ standard.py:191:40 @[ _safe_softmax_aot.py:19:19 ] ]
	v_max_f32_e32 v5, v7, v7
	v_max_f32_e32 v10, v6, v6
	;; [unrolled: 1-line block ×3, first 2 shown]
	v_max3_f32 v5, v5, v8, v9
.Ltmp8:
	.loc	2 191 40                        ; standard.py:191:40 @[ _safe_softmax_aot.py:19:19 ]
	s_add_i32 s10, s6, 0
	s_nop 0
	v_mov_b32_dpp v10, v5 row_shr:8 row_mask:0xf bank_mask:0xf bound_ctrl:1
.Ltmp9:
	.loc	2 170 27                        ; standard.py:170:27 @[ standard.py:191:40 @[ _safe_softmax_aot.py:19:19 ] ]
	v_max_f32_e32 v10, v10, v10
	v_max_f32_e32 v5, v5, v10
.Ltmp10:
	.loc	2 191 40                        ; standard.py:191:40 @[ _safe_softmax_aot.py:19:19 ]
	s_nop 1
	v_mov_b32_dpp v10, v5 row_shr:4 row_mask:0xf bank_mask:0xf bound_ctrl:1
.Ltmp11:
	.loc	2 170 27                        ; standard.py:170:27 @[ standard.py:191:40 @[ _safe_softmax_aot.py:19:19 ] ]
	v_max_f32_e32 v10, v10, v10
	v_max_f32_e32 v5, v5, v10
.Ltmp12:
	.loc	2 191 40                        ; standard.py:191:40 @[ _safe_softmax_aot.py:19:19 ]
	s_nop 1
	v_mov_b32_dpp v10, v5 row_shr:2 row_mask:0xf bank_mask:0xf bound_ctrl:1
.Ltmp13:
	.loc	2 170 27                        ; standard.py:170:27 @[ standard.py:191:40 @[ _safe_softmax_aot.py:19:19 ] ]
	v_max_f32_e32 v10, v10, v10
	v_max_f32_e32 v5, v5, v10
.Ltmp14:
	.loc	2 191 40                        ; standard.py:191:40 @[ _safe_softmax_aot.py:19:19 ]
	s_nop 1
	v_mov_b32_dpp v10, v5 row_shr:1 row_mask:0xf bank_mask:0xf bound_ctrl:1
.Ltmp15:
	.loc	2 170 27                        ; standard.py:170:27 @[ standard.py:191:40 @[ _safe_softmax_aot.py:19:19 ] ]
	v_max_f32_e32 v10, v10, v10
	v_max_f32_e32 v5, v5, v10
.Ltmp16:
	.loc	2 191 40                        ; standard.py:191:40 @[ _safe_softmax_aot.py:19:19 ]
	v_mov_b32_e32 v10, v5
	s_nop 1
	v_mov_b32_dpp v10, v10 row_bcast:15 row_mask:0xa bank_mask:0xf bound_ctrl:1
.Ltmp17:
	.loc	2 170 27                        ; standard.py:170:27 @[ standard.py:191:40 @[ _safe_softmax_aot.py:19:19 ] ]
	v_max_f32_e32 v10, v10, v10
	v_max_f32_e32 v5, v5, v10
.Ltmp18:
	.loc	2 191 40                        ; standard.py:191:40 @[ _safe_softmax_aot.py:19:19 ]
	s_nop 1
	v_mov_b32_dpp v10, v5 row_bcast:31 row_mask:0xf bank_mask:0xf bound_ctrl:1
.Ltmp19:
	.loc	2 170 27                        ; standard.py:170:27 @[ standard.py:191:40 @[ _safe_softmax_aot.py:19:19 ] ]
	v_max_f32_e32 v10, v10, v10
	v_max_f32_e32 v5, v5, v10
.Ltmp20:
	.loc	2 191 40                        ; standard.py:191:40 @[ _safe_softmax_aot.py:19:19 ]
	s_nop 0
	v_readlane_b32 s2, v5, 63
	s_and_saveexec_b64 s[0:1], vcc
; %bb.1:
	v_mov_b32_e32 v5, s10
	v_mov_b32_e32 v10, s2
	ds_write_b32 v5, v10
; %bb.2:
	.loc	2 0 40 is_stmt 0                ; standard.py:0:40
	s_or_b64 exec, exec, s[0:1]
	.loc	2 191 40                        ; standard.py:191:40 @[ _safe_softmax_aot.py:19:19 ]
	v_cmp_gt_u32_e64 s[0:1], 4, v0
	v_lshl_add_u32 v5, v0, 2, 0
.Ltmp21:
	.loc	1 19 19 is_stmt 1               ; _safe_softmax_aot.py:19:19
	v_mov_b32_e32 v10, 0
.Ltmp22:
	.loc	2 191 40                        ; standard.py:191:40 @[ _safe_softmax_aot.py:19:19 ]
	s_waitcnt lgkmcnt(0)
	s_barrier
	s_and_saveexec_b64 s[2:3], s[0:1]
; %bb.3:
	ds_read_b32 v10, v5
; %bb.4:
	.loc	2 0 40 is_stmt 0                ; standard.py:0:40
	s_or_b64 exec, exec, s[2:3]
.Ltmp23:
	.loc	2 170 27 is_stmt 1              ; standard.py:170:27 @[ standard.py:191:40 @[ _safe_softmax_aot.py:19:19 ] ]
	s_waitcnt lgkmcnt(0)
	v_max_f32_e32 v11, v10, v10
.Ltmp24:
	.loc	2 191 40                        ; standard.py:191:40 @[ _safe_softmax_aot.py:19:19 ]
	v_mov_b32_dpp v10, v10 quad_perm:[2,3,0,1] row_mask:0xf bank_mask:0xf
.Ltmp25:
	.loc	2 170 27                        ; standard.py:170:27 @[ standard.py:191:40 @[ _safe_softmax_aot.py:19:19 ] ]
	v_max_f32_e32 v10, v10, v10
	v_max_f32_e32 v10, v11, v10
.Ltmp26:
	.loc	2 191 40                        ; standard.py:191:40 @[ _safe_softmax_aot.py:19:19 ]
	v_and_b32_e32 v0, 3, v0
	v_mov_b32_e32 v11, v10
	v_cmp_eq_u32_e64 s[2:3], 0, v0
	s_and_b64 s[8:9], s[0:1], s[2:3]
	v_mov_b32_dpp v11, v11 quad_perm:[1,0,3,2] row_mask:0xf bank_mask:0xf
	s_and_saveexec_b64 s[2:3], s[8:9]
; %bb.5:
	.loc	2 0 40 is_stmt 0                ; standard.py:0:40
	v_max_f32_e32 v0, v11, v11
	v_max_f32_e32 v10, v10, v10
	;; [unrolled: 1-line block ×3, first 2 shown]
	.loc	2 191 40                        ; standard.py:191:40 @[ _safe_softmax_aot.py:19:19 ]
	ds_write_b32 v5, v0
; %bb.6:
	.loc	2 0 40                          ; standard.py:0:40
	s_or_b64 exec, exec, s[2:3]
	.loc	2 191 40                        ; standard.py:191:40 @[ _safe_softmax_aot.py:19:19 ]
	v_mov_b32_e32 v0, 0
	s_waitcnt lgkmcnt(0)
	s_barrier
	ds_read_b32 v0, v0
	s_mov_b32 s11, 0xc2fc0000
.Ltmp27:
	.loc	1 23 19 is_stmt 1               ; _safe_softmax_aot.py:23:19
	v_mov_b32_e32 v12, 0x42800000
	v_not_b32_e32 v13, 63
.Ltmp28:
	.loc	2 293 36                        ; standard.py:293:36 @[ _safe_softmax_aot.py:24:21 ]
	s_waitcnt lgkmcnt(0)
.Ltmp29:
	.loc	1 22 25                         ; _safe_softmax_aot.py:22:25
	v_sub_f32_e32 v6, v6, v0
	v_sub_f32_e32 v10, v8, v0
	.loc	1 23 19                         ; _safe_softmax_aot.py:23:19
	v_mul_f32_e32 v8, 0x3fb8aa3b, v6
	v_cmp_gt_f32_e64 s[2:3], s11, v8
	.loc	1 22 25                         ; _safe_softmax_aot.py:22:25
	v_sub_f32_e32 v7, v7, v0
	v_sub_f32_e32 v11, v9, v0
	.loc	1 23 19                         ; _safe_softmax_aot.py:23:19
	v_cndmask_b32_e64 v8, 0, v12, s[2:3]
	v_fmac_f32_e32 v8, 0x3fb8aa3b, v6
	v_exp_f32_e32 v6, v8
	v_mul_f32_e32 v8, 0x3fb8aa3b, v7
	v_cmp_gt_f32_e64 s[6:7], s11, v8
.Ltmp30:
	.loc	2 293 36                        ; standard.py:293:36 @[ _safe_softmax_aot.py:24:21 ]
	s_barrier
.Ltmp31:
	.loc	1 23 19                         ; _safe_softmax_aot.py:23:19
	s_nop 0
	v_cndmask_b32_e64 v8, 0, v12, s[6:7]
	v_fmac_f32_e32 v8, 0x3fb8aa3b, v7
	v_exp_f32_e32 v7, v8
	v_cndmask_b32_e64 v8, 0, v13, s[2:3]
	v_ldexp_f32 v9, v6, v8
	v_cndmask_b32_e64 v6, 0, v13, s[6:7]
	v_ldexp_f32 v8, v7, v6
	v_mul_f32_e32 v6, 0x3fb8aa3b, v10
	v_cmp_gt_f32_e64 s[2:3], s11, v6
	v_mul_f32_e32 v7, 0x3fb8aa3b, v11
	v_cmp_gt_f32_e64 s[6:7], s11, v7
	v_cndmask_b32_e64 v6, 0, v12, s[2:3]
	v_fmac_f32_e32 v6, 0x3fb8aa3b, v10
	v_cndmask_b32_e64 v7, 0, v12, s[6:7]
	v_exp_f32_e32 v6, v6
	v_fmac_f32_e32 v7, 0x3fb8aa3b, v11
	v_exp_f32_e32 v10, v7
	v_cndmask_b32_e64 v7, 0, v13, s[2:3]
	v_ldexp_f32 v7, v6, v7
	v_cndmask_b32_e64 v6, 0, v13, s[6:7]
	v_ldexp_f32 v6, v10, v6
.Ltmp32:
	.loc	2 263 15                        ; standard.py:263:15 @[ standard.py:293:36 @[ _safe_softmax_aot.py:24:21 ] ]
	v_add_f32_e32 v10, v9, v8
	v_add_f32_e32 v10, v7, v10
	;; [unrolled: 1-line block ×3, first 2 shown]
	s_nop 1
	v_add_f32_dpp v10, v10, v10 row_shr:8 row_mask:0xf bank_mask:0xf bound_ctrl:1
	s_nop 1
	v_add_f32_dpp v10, v10, v10 row_shr:4 row_mask:0xf bank_mask:0xf bound_ctrl:1
	s_nop 1
	v_add_f32_dpp v10, v10, v10 row_shr:2 row_mask:0xf bank_mask:0xf bound_ctrl:1
	s_nop 1
	v_add_f32_dpp v10, v10, v10 row_shr:1 row_mask:0xf bank_mask:0xf bound_ctrl:1
.Ltmp33:
	.loc	2 293 36                        ; standard.py:293:36 @[ _safe_softmax_aot.py:24:21 ]
	v_mov_b32_e32 v11, v10
	s_nop 1
	v_mov_b32_dpp v11, v11 row_bcast:15 row_mask:0xa bank_mask:0xf bound_ctrl:1
.Ltmp34:
	.loc	2 263 15                        ; standard.py:263:15 @[ standard.py:293:36 @[ _safe_softmax_aot.py:24:21 ] ]
	v_add_f32_e32 v10, v11, v10
	s_nop 1
	v_add_f32_dpp v10, v10, v10 row_bcast:31 row_mask:0xf bank_mask:0xf bound_ctrl:1
.Ltmp35:
	.loc	2 293 36                        ; standard.py:293:36 @[ _safe_softmax_aot.py:24:21 ]
	s_nop 0
	v_readlane_b32 s6, v10, 63
	s_and_saveexec_b64 s[2:3], vcc
; %bb.7:
	v_mov_b32_e32 v10, s10
	v_mov_b32_e32 v11, s6
	ds_write_b32 v10, v11
.Ltmp36:
; %bb.8:
	.loc	2 0 36 is_stmt 0                ; standard.py:0:36
	s_or_b64 exec, exec, s[2:3]
	.loc	1 24 21 is_stmt 1               ; _safe_softmax_aot.py:24:21
	v_mov_b32_e32 v10, 0
.Ltmp37:
	.loc	2 293 36                        ; standard.py:293:36 @[ _safe_softmax_aot.py:24:21 ]
	s_waitcnt lgkmcnt(0)
	s_barrier
	s_and_saveexec_b64 s[2:3], s[0:1]
; %bb.9:
	ds_read_b32 v10, v5
; %bb.10:
	.loc	2 0 36 is_stmt 0                ; standard.py:0:36
	s_or_b64 exec, exec, s[2:3]
	.loc	2 293 36                        ; standard.py:293:36 @[ _safe_softmax_aot.py:24:21 ]
	s_waitcnt lgkmcnt(0)
	v_mov_b32_e32 v11, v10
	s_nop 1
	v_mov_b32_dpp v11, v11 quad_perm:[2,3,0,1] row_mask:0xf bank_mask:0xf
.Ltmp38:
	.loc	2 263 15 is_stmt 1              ; standard.py:263:15 @[ standard.py:293:36 @[ _safe_softmax_aot.py:24:21 ] ]
	v_add_f32_e32 v10, v10, v11
.Ltmp39:
	.loc	2 293 36                        ; standard.py:293:36 @[ _safe_softmax_aot.py:24:21 ]
	v_mov_b32_e32 v11, v10
	s_nop 1
	v_mov_b32_dpp v11, v11 quad_perm:[1,0,3,2] row_mask:0xf bank_mask:0xf
	s_and_saveexec_b64 s[0:1], s[8:9]
; %bb.11:
	.loc	2 0 36 is_stmt 0                ; standard.py:0:36
	v_add_f32_e32 v10, v10, v11
	.loc	2 293 36                        ; standard.py:293:36 @[ _safe_softmax_aot.py:24:21 ]
	ds_write_b32 v5, v10
; %bb.12:
	.loc	2 0 36                          ; standard.py:0:36
	s_or_b64 exec, exec, s[0:1]
	.loc	2 293 36                        ; standard.py:293:36 @[ _safe_softmax_aot.py:24:21 ]
	v_mov_b32_e32 v5, 0
	s_waitcnt lgkmcnt(0)
	s_barrier
	ds_read_b32 v5, v5
	s_mov_b32 s2, 0xff800000
	s_mov_b32 s3, 0x27000
.Ltmp40:
	.loc	1 25 22 is_stmt 1               ; _safe_softmax_aot.py:25:22
	s_waitcnt lgkmcnt(0)
	v_div_scale_f32 v10, s[0:1], v5, v5, v9
	v_rcp_f32_e32 v11, v10
	v_div_scale_f32 v12, vcc, v9, v5, v9
	v_fma_f32 v13, -v10, v11, 1.0
	v_fmac_f32_e32 v11, v13, v11
	v_mul_f32_e32 v13, v12, v11
	v_fma_f32 v14, -v10, v13, v12
	v_fmac_f32_e32 v13, v14, v11
	v_fma_f32 v10, -v10, v13, v12
	v_div_scale_f32 v12, s[0:1], v5, v5, v8
	v_rcp_f32_e32 v14, v12
	v_div_fmas_f32 v10, v10, v11, v13
	v_div_fixup_f32 v9, v10, v5, v9
	v_fma_f32 v10, -v12, v14, 1.0
	v_fmac_f32_e32 v14, v10, v14
	v_div_scale_f32 v10, vcc, v8, v5, v8
	v_mul_f32_e32 v11, v10, v14
	v_fma_f32 v13, -v12, v11, v10
	v_fmac_f32_e32 v11, v13, v14
	v_fma_f32 v10, -v12, v11, v10
	v_div_scale_f32 v12, s[0:1], v5, v5, v7
	v_rcp_f32_e32 v13, v12
	v_div_fmas_f32 v10, v10, v14, v11
	v_div_fixup_f32 v8, v10, v5, v8
	v_fma_f32 v10, -v12, v13, 1.0
	v_fmac_f32_e32 v13, v10, v13
	v_div_scale_f32 v10, vcc, v7, v5, v7
	v_mul_f32_e32 v11, v10, v13
	v_fma_f32 v14, -v12, v11, v10
	v_fmac_f32_e32 v11, v14, v13
	v_fma_f32 v10, -v12, v11, v10
	v_div_scale_f32 v12, s[0:1], v5, v5, v6
	v_rcp_f32_e32 v14, v12
	v_div_fmas_f32 v10, v10, v13, v11
	v_div_fixup_f32 v7, v10, v5, v7
	.loc	1 29 26                         ; _safe_softmax_aot.py:29:26
	s_add_u32 s0, s4, s12
	.loc	1 25 22                         ; _safe_softmax_aot.py:25:22
	v_fma_f32 v10, -v12, v14, 1.0
	v_fmac_f32_e32 v14, v10, v14
	v_div_scale_f32 v10, vcc, v6, v5, v6
	v_mul_f32_e32 v11, v10, v14
	v_fma_f32 v13, -v12, v11, v10
	v_fmac_f32_e32 v11, v13, v14
	v_fma_f32 v10, -v12, v11, v10
	v_div_fmas_f32 v10, v10, v14, v11
	.loc	1 20 26                         ; _safe_softmax_aot.py:20:26
	v_cmp_eq_f32_e32 vcc, s2, v0
	.loc	1 29 26                         ; _safe_softmax_aot.py:29:26
	s_addc_u32 s1, s5, s13
	.loc	1 25 22                         ; _safe_softmax_aot.py:25:22
	v_div_fixup_f32 v5, v10, v5, v6
	.loc	1 27 77                         ; _safe_softmax_aot.py:27:77
	v_cndmask_b32_e64 v0, v9, 0, vcc
	.loc	1 29 45                         ; _safe_softmax_aot.py:29:45
	s_and_b32 s1, s1, 0xffff
	s_mov_b32 s2, 0x7ffffffe
	.loc	1 27 77                         ; _safe_softmax_aot.py:27:77
	v_cndmask_b32_e64 v6, v8, 0, vcc
	v_cndmask_b32_e64 v7, v7, 0, vcc
	;; [unrolled: 1-line block ×3, first 2 shown]
	.loc	1 29 45                         ; _safe_softmax_aot.py:29:45
	buffer_store_dword v0, v1, s[0:3], 0 offen
	buffer_store_dword v6, v2, s[0:3], 0 offen
	;; [unrolled: 1-line block ×4, first 2 shown]
	.loc	1 29 4 is_stmt 0                ; _safe_softmax_aot.py:29:4
	s_endpgm
.Ltmp41:
	.section	.rodata,"a",@progbits
	.p2align	6, 0x0
	.amdhsa_kernel _safe_softmax_kernel
		.amdhsa_group_segment_fixed_size 0
		.amdhsa_private_segment_fixed_size 0
		.amdhsa_kernarg_size 40
		.amdhsa_user_sgpr_count 12
		.amdhsa_user_sgpr_dispatch_ptr 0
		.amdhsa_user_sgpr_queue_ptr 0
		.amdhsa_user_sgpr_kernarg_segment_ptr 1
		.amdhsa_user_sgpr_dispatch_id 0
		.amdhsa_user_sgpr_kernarg_preload_length 10
		.amdhsa_user_sgpr_kernarg_preload_offset 0
		.amdhsa_user_sgpr_private_segment_size 0
		.amdhsa_uses_dynamic_stack 0
		.amdhsa_enable_private_segment 0
		.amdhsa_system_sgpr_workgroup_id_x 1
		.amdhsa_system_sgpr_workgroup_id_y 0
		.amdhsa_system_sgpr_workgroup_id_z 0
		.amdhsa_system_sgpr_workgroup_info 0
		.amdhsa_system_vgpr_workitem_id 0
		.amdhsa_next_free_vgpr 15
		.amdhsa_next_free_sgpr 20
		.amdhsa_accum_offset 16
		.amdhsa_reserve_vcc 1
		.amdhsa_reserve_xnack_mask 1
		.amdhsa_float_round_mode_32 0
		.amdhsa_float_round_mode_16_64 0
		.amdhsa_float_denorm_mode_32 3
		.amdhsa_float_denorm_mode_16_64 3
		.amdhsa_dx10_clamp 1
		.amdhsa_ieee_mode 1
		.amdhsa_fp16_overflow 0
		.amdhsa_tg_split 0
		.amdhsa_exception_fp_ieee_invalid_op 0
		.amdhsa_exception_fp_denorm_src 0
		.amdhsa_exception_fp_ieee_div_zero 0
		.amdhsa_exception_fp_ieee_overflow 0
		.amdhsa_exception_fp_ieee_underflow 0
		.amdhsa_exception_fp_ieee_inexact 0
		.amdhsa_exception_int_div_zero 0
	.end_amdhsa_kernel
	.text
.Lfunc_end0:
	.size	_safe_softmax_kernel, .Lfunc_end0-_safe_softmax_kernel
	.cfi_endproc
                                        ; -- End function
	.set _safe_softmax_kernel.num_vgpr, 15
	.set _safe_softmax_kernel.num_agpr, 0
	.set _safe_softmax_kernel.numbered_sgpr, 20
	.set _safe_softmax_kernel.num_named_barrier, 0
	.set _safe_softmax_kernel.private_seg_size, 0
	.set _safe_softmax_kernel.uses_vcc, 1
	.set _safe_softmax_kernel.uses_flat_scratch, 0
	.set _safe_softmax_kernel.has_dyn_sized_stack, 0
	.set _safe_softmax_kernel.has_recursion, 0
	.set _safe_softmax_kernel.has_indirect_call, 0
	.section	.AMDGPU.csdata,"",@progbits
; Kernel info:
; codeLenInByte = 1752
; TotalNumSgprs: 26
; NumVgprs: 15
; NumAgprs: 0
; TotalNumVgprs: 15
; ScratchSize: 0
; MemoryBound: 0
; FloatMode: 240
; IeeeMode: 1
; LDSByteSize: 0 bytes/workgroup (compile time only)
; SGPRBlocks: 3
; VGPRBlocks: 1
; NumSGPRsForWavesPerEU: 26
; NumVGPRsForWavesPerEU: 15
; AccumOffset: 16
; Occupancy: 8
; WaveLimiterHint : 0
; COMPUTE_PGM_RSRC2:SCRATCH_EN: 0
; COMPUTE_PGM_RSRC2:USER_SGPR: 12
; COMPUTE_PGM_RSRC2:TRAP_HANDLER: 0
; COMPUTE_PGM_RSRC2:TGID_X_EN: 1
; COMPUTE_PGM_RSRC2:TGID_Y_EN: 0
; COMPUTE_PGM_RSRC2:TGID_Z_EN: 0
; COMPUTE_PGM_RSRC2:TIDIG_COMP_CNT: 0
; COMPUTE_PGM_RSRC3_GFX90A:ACCUM_OFFSET: 3
; COMPUTE_PGM_RSRC3_GFX90A:TG_SPLIT: 0
	.text
	.p2alignl 6, 3212836864
	.fill 256, 4, 3212836864
	.section	.AMDGPU.gpr_maximums,"",@progbits
	.set amdgpu.max_num_vgpr, 0
	.set amdgpu.max_num_agpr, 0
	.set amdgpu.max_num_sgpr, 0
	.set amdgpu.max_num_named_barrier, 0
	.text
	.section	.debug_abbrev,"",@progbits
	.byte	1                               ; Abbreviation Code
	.byte	17                              ; DW_TAG_compile_unit
	.byte	1                               ; DW_CHILDREN_yes
	.byte	37                              ; DW_AT_producer
	.byte	14                              ; DW_FORM_strp
	.byte	19                              ; DW_AT_language
	.byte	5                               ; DW_FORM_data2
	.byte	3                               ; DW_AT_name
	.byte	14                              ; DW_FORM_strp
	.byte	16                              ; DW_AT_stmt_list
	.byte	23                              ; DW_FORM_sec_offset
	.byte	27                              ; DW_AT_comp_dir
	.byte	14                              ; DW_FORM_strp
	.byte	17                              ; DW_AT_low_pc
	.byte	1                               ; DW_FORM_addr
	.byte	18                              ; DW_AT_high_pc
	.byte	6                               ; DW_FORM_data4
	.byte	0                               ; EOM(1)
	.byte	0                               ; EOM(2)
	.byte	2                               ; Abbreviation Code
	.byte	46                              ; DW_TAG_subprogram
	.byte	0                               ; DW_CHILDREN_no
	.byte	3                               ; DW_AT_name
	.byte	14                              ; DW_FORM_strp
	.byte	32                              ; DW_AT_inline
	.byte	11                              ; DW_FORM_data1
	.byte	0                               ; EOM(1)
	.byte	0                               ; EOM(2)
	.byte	3                               ; Abbreviation Code
	.byte	46                              ; DW_TAG_subprogram
	.byte	1                               ; DW_CHILDREN_yes
	.byte	17                              ; DW_AT_low_pc
	.byte	1                               ; DW_FORM_addr
	.byte	18                              ; DW_AT_high_pc
	.byte	6                               ; DW_FORM_data4
	.byte	49                              ; DW_AT_abstract_origin
	.byte	19                              ; DW_FORM_ref4
	.byte	0                               ; EOM(1)
	.byte	0                               ; EOM(2)
	.byte	4                               ; Abbreviation Code
	.byte	29                              ; DW_TAG_inlined_subroutine
	.byte	1                               ; DW_CHILDREN_yes
	.byte	49                              ; DW_AT_abstract_origin
	.byte	19                              ; DW_FORM_ref4
	.byte	85                              ; DW_AT_ranges
	.byte	23                              ; DW_FORM_sec_offset
	.byte	88                              ; DW_AT_call_file
	.byte	11                              ; DW_FORM_data1
	.byte	89                              ; DW_AT_call_line
	.byte	11                              ; DW_FORM_data1
	.byte	87                              ; DW_AT_call_column
	.byte	11                              ; DW_FORM_data1
	.byte	0                               ; EOM(1)
	.byte	0                               ; EOM(2)
	.byte	5                               ; Abbreviation Code
	.byte	29                              ; DW_TAG_inlined_subroutine
	.byte	0                               ; DW_CHILDREN_no
	.byte	49                              ; DW_AT_abstract_origin
	.byte	19                              ; DW_FORM_ref4
	.byte	85                              ; DW_AT_ranges
	.byte	23                              ; DW_FORM_sec_offset
	.byte	88                              ; DW_AT_call_file
	.byte	11                              ; DW_FORM_data1
	.byte	89                              ; DW_AT_call_line
	.byte	5                               ; DW_FORM_data2
	.byte	87                              ; DW_AT_call_column
	.byte	11                              ; DW_FORM_data1
	.byte	0                               ; EOM(1)
	.byte	0                               ; EOM(2)
	.byte	6                               ; Abbreviation Code
	.byte	29                              ; DW_TAG_inlined_subroutine
	.byte	0                               ; DW_CHILDREN_no
	.byte	49                              ; DW_AT_abstract_origin
	.byte	19                              ; DW_FORM_ref4
	.byte	85                              ; DW_AT_ranges
	.byte	23                              ; DW_FORM_sec_offset
	.byte	88                              ; DW_AT_call_file
	.byte	11                              ; DW_FORM_data1
	.byte	89                              ; DW_AT_call_line
	.byte	11                              ; DW_FORM_data1
	.byte	87                              ; DW_AT_call_column
	.byte	11                              ; DW_FORM_data1
	.byte	0                               ; EOM(1)
	.byte	0                               ; EOM(2)
	;; [unrolled: 1-line block ×3, first 2 shown]
	.section	.debug_info,"",@progbits
.Lcu_begin0:
	.long	.Ldebug_info_end0-.Ldebug_info_start0 ; Length of Unit
.Ldebug_info_start0:
	.short	4                               ; DWARF version number
	.long	.debug_abbrev                   ; Offset Into Abbrev. Section
	.byte	8                               ; Address Size (in bytes)
	.byte	1                               ; Abbrev [1] 0xb:0x6b DW_TAG_compile_unit
	.long	.Linfo_string0                  ; DW_AT_producer
	.short	2                               ; DW_AT_language
	.long	.Linfo_string1                  ; DW_AT_name
	.long	.Lline_table_start0             ; DW_AT_stmt_list
	.long	.Linfo_string2                  ; DW_AT_comp_dir
	.quad	.Lfunc_begin0                   ; DW_AT_low_pc
	.long	.Lfunc_end0-.Lfunc_begin0       ; DW_AT_high_pc
	.byte	2                               ; Abbrev [2] 0x2a:0x6 DW_TAG_subprogram
	.long	.Linfo_string3                  ; DW_AT_name
	.byte	1                               ; DW_AT_inline
	.byte	3                               ; Abbrev [3] 0x30:0x45 DW_TAG_subprogram
	.quad	.Lfunc_begin0                   ; DW_AT_low_pc
	.long	.Lfunc_end0-.Lfunc_begin0       ; DW_AT_high_pc
	.long	42                              ; DW_AT_abstract_origin
	.byte	4                               ; Abbrev [4] 0x41:0x1a DW_TAG_inlined_subroutine
	.long	42                              ; DW_AT_abstract_origin
	.long	.Ldebug_ranges0                 ; DW_AT_ranges
	.byte	1                               ; DW_AT_call_file
	.byte	24                              ; DW_AT_call_line
	.byte	21                              ; DW_AT_call_column
	.byte	5                               ; Abbrev [5] 0x4d:0xd DW_TAG_inlined_subroutine
	.long	42                              ; DW_AT_abstract_origin
	.long	.Ldebug_ranges1                 ; DW_AT_ranges
	.byte	2                               ; DW_AT_call_file
	.short	293                             ; DW_AT_call_line
	.byte	36                              ; DW_AT_call_column
	.byte	0                               ; End Of Children Mark
	.byte	4                               ; Abbrev [4] 0x5b:0x19 DW_TAG_inlined_subroutine
	.long	42                              ; DW_AT_abstract_origin
	.long	.Ldebug_ranges2                 ; DW_AT_ranges
	.byte	1                               ; DW_AT_call_file
	.byte	19                              ; DW_AT_call_line
	.byte	19                              ; DW_AT_call_column
	.byte	6                               ; Abbrev [6] 0x67:0xc DW_TAG_inlined_subroutine
	.long	42                              ; DW_AT_abstract_origin
	.long	.Ldebug_ranges3                 ; DW_AT_ranges
	.byte	2                               ; DW_AT_call_file
	.byte	191                             ; DW_AT_call_line
	.byte	40                              ; DW_AT_call_column
	.byte	0                               ; End Of Children Mark
	.byte	0                               ; End Of Children Mark
	;; [unrolled: 1-line block ×3, first 2 shown]
.Ldebug_info_end0:
	.section	.debug_ranges,"",@progbits
.Ldebug_ranges0:
	.quad	.Ltmp1-.Lfunc_begin0
	.quad	.Ltmp2-.Lfunc_begin0
	;; [unrolled: 1-line block ×10, first 2 shown]
	.quad	0
	.quad	0
.Ldebug_ranges1:
	.quad	.Ltmp32-.Lfunc_begin0
	.quad	.Ltmp33-.Lfunc_begin0
	;; [unrolled: 1-line block ×6, first 2 shown]
	.quad	0
	.quad	0
.Ldebug_ranges2:
	.quad	.Ltmp3-.Lfunc_begin0
	.quad	.Ltmp4-.Lfunc_begin0
	;; [unrolled: 1-line block ×8, first 2 shown]
	.quad	0
	.quad	0
.Ldebug_ranges3:
	.quad	.Ltmp7-.Lfunc_begin0
	.quad	.Ltmp8-.Lfunc_begin0
	;; [unrolled: 1-line block ×18, first 2 shown]
	.quad	0
	.quad	0
	.section	.debug_str,"MS",@progbits,1
.Linfo_string0:
	.asciz	"triton"                        ; string offset=0
.Linfo_string1:
	.asciz	"_safe_softmax_aot.py"          ; string offset=7
.Linfo_string2:
	.asciz	"/root/src/amdgpu-assembly/repos/FlagOpen__FlagGems/triton_aot_kernels" ; string offset=28
.Linfo_string3:
	.asciz	"_safe_softmax_kernel"          ; string offset=98
	.section	".note.GNU-stack","",@progbits
	.amdgpu_metadata
---
amdhsa.kernels:
  - .agpr_count:     0
    .args:
      - .address_space:  global
        .offset:         0
        .size:           8
        .value_kind:     global_buffer
      - .address_space:  global
        .offset:         8
        .size:           8
        .value_kind:     global_buffer
      - .offset:         16
        .size:           4
        .value_kind:     by_value
      - .offset:         20
        .size:           4
        .value_kind:     by_value
      - .address_space:  global
        .offset:         24
        .size:           8
        .value_kind:     global_buffer
      - .address_space:  global
        .offset:         32
        .size:           8
        .value_kind:     global_buffer
    .group_segment_fixed_size: 0
    .kernarg_segment_align: 8
    .kernarg_segment_size: 40
    .max_flat_workgroup_size: 256
    .name:           _safe_softmax_kernel
    .private_segment_fixed_size: 0
    .sgpr_count:     26
    .sgpr_spill_count: 0
    .symbol:         _safe_softmax_kernel.kd
    .uniform_work_group_size: 1
    .uses_dynamic_stack: false
    .vgpr_count:     15
    .vgpr_spill_count: 0
    .wavefront_size: 64
amdhsa.target:   amdgcn-amd-amdhsa--gfx950
amdhsa.version:
  - 1
  - 2
...

	.end_amdgpu_metadata
	.section	.debug_line,"",@progbits
.Lline_table_start0:
